;; amdgpu-corpus repo=ROCm/bitsandbytes kind=harvested arch=n/a opt=n/a
	.text
	.amdgcn_target "amdgcn-amd-amdhsa--gfx90a"
	.amdhsa_code_object_version 6
	.protected	_Z27kspmm_coo_very_sparse_naiveI6__halfLi8ELi16EEvPiS1_S1_S1_S1_PS0_PT_S2_Pfiiii ; -- Begin function _Z27kspmm_coo_very_sparse_naiveI6__halfLi8ELi16EEvPiS1_S1_S1_S1_PS0_PT_S2_Pfiiii
	.globl	_Z27kspmm_coo_very_sparse_naiveI6__halfLi8ELi16EEvPiS1_S1_S1_S1_PS0_PT_S2_Pfiiii
	.p2align	8
	.type	_Z27kspmm_coo_very_sparse_naiveI6__halfLi8ELi16EEvPiS1_S1_S1_S1_PS0_PT_S2_Pfiiii,@function
_Z27kspmm_coo_very_sparse_naiveI6__halfLi8ELi16EEvPiS1_S1_S1_S1_PS0_PT_S2_Pfiiii: ; @_Z27kspmm_coo_very_sparse_naiveI6__halfLi8ELi16EEvPiS1_S1_S1_S1_PS0_PT_S2_Pfiiii
; %bb.0:
	s_load_dwordx16 s[16:31], s[4:5], 0x0
	s_add_u32 s0, s0, s9
	s_mov_b32 s9, 0
	s_addc_u32 s1, s1, 0
	s_lshl_b64 s[6:7], s[8:9], 2
	s_waitcnt lgkmcnt(0)
	s_add_u32 s10, s16, s6
	s_addc_u32 s11, s17, s7
	s_add_u32 s12, s18, s6
	s_addc_u32 s13, s19, s7
	s_load_dword s6, s[12:13], 0x0
	s_load_dword s33, s[10:11], 0x0
	s_mov_b32 s10, 0
	s_waitcnt lgkmcnt(0)
	s_cmp_eq_u32 s6, 0
	s_cbranch_scc1 .LBB31_2
; %bb.1:
	s_ashr_i32 s7, s6, 31
	s_lshl_b64 s[6:7], s[6:7], 2
	s_add_u32 s6, s20, s6
	s_addc_u32 s7, s21, s7
	s_add_u32 s6, s6, -4
	s_addc_u32 s7, s7, -1
	s_load_dword s10, s[6:7], 0x0
.LBB31_2:
	s_waitcnt lgkmcnt(0)
	s_ashr_i32 s11, s10, 31
	s_lshl_b64 s[12:13], s[10:11], 2
	s_add_u32 s14, s22, s12
	s_addc_u32 s15, s23, s13
	s_cmp_lt_i32 s33, 1
	s_cselect_b64 s[6:7], -1, 0
	s_cmp_gt_i32 s33, 0
	v_mov_b32_e32 v1, 0
	v_mov_b32_e32 v2, 0
	s_cbranch_scc0 .LBB31_4
; %bb.3:
	s_lshl_b64 s[8:9], s[10:11], 1
	s_add_u32 s8, s26, s8
	s_addc_u32 s9, s27, s9
	v_mov_b32_e32 v2, 0
	global_load_ushort v2, v2, s[8:9]
	s_add_u32 s8, s24, s12
	s_addc_u32 s9, s25, s13
	s_load_dword s9, s[8:9], 0x0
.LBB31_4:
	s_nop 0
	s_load_dword s8, s[14:15], 0x0
	s_waitcnt vmcnt(0)
	buffer_store_short v2, off, s[0:3], 0
	s_waitcnt lgkmcnt(0)
	v_mov_b32_e32 v2, s9
	s_mov_b32 s9, 0
	s_cmp_lt_i32 s33, 2
	s_mov_b32 s14, 0
	buffer_store_dword v2, off, s[0:3], 0 offset:64
	s_cbranch_scc1 .LBB31_6
; %bb.5:
	s_lshl_b64 s[14:15], s[10:11], 1
	s_add_u32 s14, s26, s14
	s_addc_u32 s15, s27, s15
	v_mov_b32_e32 v1, 0
	global_load_ushort v1, v1, s[14:15] offset:2
	s_add_u32 s14, s24, s12
	s_addc_u32 s15, s25, s13
	s_load_dword s14, s[14:15], 0x4
.LBB31_6:
	s_waitcnt vmcnt(0)
	buffer_store_short v1, off, s[0:3], 0 offset:2
	s_waitcnt lgkmcnt(0)
	v_mov_b32_e32 v1, s14
	buffer_store_dword v1, off, s[0:3], 0 offset:68
	s_cmp_lt_i32 s33, 3
	v_mov_b32_e32 v1, 0
	v_mov_b32_e32 v2, 0
	s_cbranch_scc1 .LBB31_8
; %bb.7:
	s_lshl_b64 s[14:15], s[10:11], 1
	s_add_u32 s14, s26, s14
	s_addc_u32 s15, s27, s15
	v_mov_b32_e32 v2, 0
	global_load_ushort v2, v2, s[14:15] offset:4
	s_add_u32 s14, s24, s12
	s_addc_u32 s15, s25, s13
	s_load_dword s9, s[14:15], 0x8
.LBB31_8:
	s_waitcnt vmcnt(0)
	buffer_store_short v2, off, s[0:3], 0 offset:4
	s_waitcnt lgkmcnt(0)
	v_mov_b32_e32 v2, s9
	s_mov_b32 s9, 0
	s_cmp_lt_i32 s33, 4
	s_mov_b32 s14, 0
	buffer_store_dword v2, off, s[0:3], 0 offset:72
	s_cbranch_scc1 .LBB31_10
; %bb.9:
	s_lshl_b64 s[14:15], s[10:11], 1
	s_add_u32 s14, s26, s14
	s_addc_u32 s15, s27, s15
	v_mov_b32_e32 v1, 0
	global_load_ushort v1, v1, s[14:15] offset:6
	s_add_u32 s14, s24, s12
	s_addc_u32 s15, s25, s13
	s_load_dword s14, s[14:15], 0xc
.LBB31_10:
	s_waitcnt vmcnt(0)
	buffer_store_short v1, off, s[0:3], 0 offset:6
	s_waitcnt lgkmcnt(0)
	v_mov_b32_e32 v1, s14
	buffer_store_dword v1, off, s[0:3], 0 offset:76
	s_cmp_lt_i32 s33, 5
	v_mov_b32_e32 v1, 0
	v_mov_b32_e32 v2, 0
	s_cbranch_scc1 .LBB31_12
; %bb.11:
	s_lshl_b64 s[14:15], s[10:11], 1
	s_add_u32 s14, s26, s14
	s_addc_u32 s15, s27, s15
	v_mov_b32_e32 v2, 0
	global_load_ushort v2, v2, s[14:15] offset:8
	s_add_u32 s14, s24, s12
	s_addc_u32 s15, s25, s13
	s_load_dword s9, s[14:15], 0x10
.LBB31_12:
	s_waitcnt vmcnt(0)
	buffer_store_short v2, off, s[0:3], 0 offset:8
	;; [unrolled: 38-line block ×15, first 2 shown]
	s_waitcnt lgkmcnt(0)
	v_mov_b32_e32 v2, s9
	s_cmp_lt_i32 s33, 32
	s_mov_b32 s9, 0
	buffer_store_dword v2, off, s[0:3], 0 offset:184
	s_cbranch_scc1 .LBB31_66
; %bb.65:
	s_lshl_b64 s[10:11], s[10:11], 1
	s_add_u32 s10, s26, s10
	s_addc_u32 s11, s27, s11
	v_mov_b32_e32 v1, 0
	global_load_ushort v1, v1, s[10:11] offset:62
	s_add_u32 s10, s24, s12
	s_addc_u32 s11, s25, s13
	s_load_dword s9, s[10:11], 0x7c
.LBB31_66:
	s_load_dword s42, s[4:5], 0x54
	v_lshlrev_b32_e32 v2, 3, v0
	s_waitcnt vmcnt(0)
	buffer_store_short v1, off, s[0:3], 0 offset:62
	s_waitcnt lgkmcnt(0)
	v_mov_b32_e32 v1, s9
	buffer_store_dword v1, off, s[0:3], 0 offset:188
	v_and_b32_e32 v1, 0x1e00, v2
	v_cmp_gt_i32_e32 vcc, s42, v1
	s_and_saveexec_b64 s[10:11], vcc
	s_cbranch_execz .LBB31_123
; %bb.67:
	s_load_dwordx2 s[10:11], s[4:5], 0x40
	s_load_dword s9, s[4:5], 0x64
	v_and_b32_e32 v9, 0x1f8, v2
	v_add_lshl_u32 v2, v0, v1, 2
	s_mov_b64 s[26:27], 0
	s_waitcnt lgkmcnt(0)
	s_cmp_lg_u64 s[10:11], 0
	s_cselect_b64 s[4:5], -1, 0
	s_and_b32 s44, s9, 0xffff
	s_lshl_b32 s45, s44, 3
	s_add_u32 s46, s30, 2
	s_addc_u32 s47, s31, 0
	s_add_u32 s48, s30, 4
	s_addc_u32 s49, s31, 0
	;; [unrolled: 2-line block ×6, first 2 shown]
	v_mov_b32_e32 v3, s11
	v_add_co_u32_e32 v6, vcc, s10, v2
	s_add_u32 s58, s30, 14
	v_addc_co_u32_e32 v7, vcc, 0, v3, vcc
	v_cndmask_b32_e64 v2, 0, 1, s[4:5]
	v_cndmask_b32_e64 v3, 0, 1, s[6:7]
	s_mul_i32 s43, s8, s42
	s_addc_u32 s59, s31, 0
	v_lshlrev_b32_e32 v14, 1, v0
	s_lshl_b32 s60, s44, 1
	s_mov_b32 s61, 0
	s_lshl_b32 s62, s44, 2
	s_movk_i32 s63, 0x7ff
	v_cmp_ne_u32_e64 s[4:5], 1, v2
	v_cmp_ne_u32_e64 s[6:7], 1, v3
	v_mov_b32_e32 v15, v1
	s_branch .LBB31_69
.LBB31_68:                              ;   in Loop: Header=BB31_69 Depth=1
	s_or_b64 exec, exec, s[8:9]
	v_add_u32_e32 v15, s45, v15
	v_cmp_le_i32_e32 vcc, s42, v15
	s_or_b64 s[26:27], vcc, s[26:27]
	s_andn2_b64 exec, exec, s[26:27]
	s_cbranch_execz .LBB31_123
.LBB31_69:                              ; =>This Loop Header: Depth=1
                                        ;     Child Loop BB31_72 Depth 2
                                        ;     Child Loop BB31_82 Depth 2
	s_and_b64 vcc, exec, s[4:5]
	s_cbranch_vccnz .LBB31_75
; %bb.70:                               ;   in Loop: Header=BB31_69 Depth=1
	s_mov_b64 s[8:9], 0
	v_pk_mov_b32 v[2:3], v[6:7], v[6:7] op_sel:[0,1]
	v_mov_b32_e32 v4, v14
	v_mov_b32_e32 v5, v0
	s_branch .LBB31_72
.LBB31_71:                              ;   in Loop: Header=BB31_72 Depth=2
	s_or_b64 exec, exec, s[10:11]
	v_add_u32_e32 v5, s44, v5
	v_cmp_lt_u32_e32 vcc, s63, v5
	v_mov_b32_e32 v8, s61
	s_or_b64 s[8:9], vcc, s[8:9]
	v_add_co_u32_e32 v2, vcc, s62, v2
	v_add_u32_e32 v4, s60, v4
	v_addc_co_u32_e32 v3, vcc, v3, v8, vcc
	s_andn2_b64 exec, exec, s[8:9]
	s_cbranch_execz .LBB31_74
.LBB31_72:                              ;   Parent Loop BB31_69 Depth=1
                                        ; =>  This Inner Loop Header: Depth=2
	v_add_u32_e32 v8, v1, v5
	v_cmp_gt_i32_e32 vcc, s42, v8
	s_and_saveexec_b64 s[10:11], vcc
	s_cbranch_execz .LBB31_71
; %bb.73:                               ;   in Loop: Header=BB31_72 Depth=2
	global_load_dword v8, v[2:3], off
	s_waitcnt vmcnt(0)
	v_cvt_f16_f32_e32 v8, v8
	ds_write_b16 v4, v8
	s_branch .LBB31_71
.LBB31_74:                              ;   in Loop: Header=BB31_69 Depth=1
	s_or_b64 exec, exec, s[8:9]
	s_waitcnt lgkmcnt(0)
	s_barrier
.LBB31_75:                              ;   in Loop: Header=BB31_69 Depth=1
	s_and_b64 vcc, exec, s[6:7]
	v_add_u32_e32 v8, v15, v9
	s_cbranch_vccnz .LBB31_77
; %bb.76:                               ;   in Loop: Header=BB31_69 Depth=1
	v_add_u32_e32 v24, 8, v8
	s_mov_b64 s[8:9], 0
	s_mov_b32 s10, 0
	s_branch .LBB31_78
.LBB31_77:                              ;   in Loop: Header=BB31_69 Depth=1
	s_mov_b64 s[8:9], -1
                                        ; implicit-def: $sgpr10
                                        ; implicit-def: $vgpr24
.LBB31_78:                              ;   in Loop: Header=BB31_69 Depth=1
	s_andn2_b64 vcc, exec, s[8:9]
	v_mov_b32_e32 v16, s10
	v_mov_b32_e32 v17, s10
	;; [unrolled: 1-line block ×8, first 2 shown]
	s_cbranch_vccnz .LBB31_103
; %bb.79:                               ;   in Loop: Header=BB31_69 Depth=1
	v_or_b32_e32 v2, 1, v8
	v_cmp_gt_i32_e64 s[10:11], s42, v2
	v_or_b32_e32 v2, 2, v8
	v_cmp_gt_i32_e64 s[12:13], s42, v2
	;; [unrolled: 2-line block ×5, first 2 shown]
	v_or_b32_e32 v2, 6, v8
	v_add_u32_e32 v24, 8, v8
	v_cmp_gt_i32_e64 s[20:21], s42, v2
	v_or_b32_e32 v2, 7, v8
	v_cmp_gt_i32_e32 vcc, s42, v8
	v_cmp_le_i32_e64 s[8:9], s42, v24
	v_cmp_gt_i32_e64 s[22:23], s42, v2
	v_mov_b32_e32 v25, 64
	v_mov_b32_e32 v26, 0
	;; [unrolled: 1-line block ×3, first 2 shown]
	s_mov_b32 s64, s33
	v_mov_b32_e32 v22, 0
	v_mov_b32_e32 v21, 0
	;; [unrolled: 1-line block ×7, first 2 shown]
	s_branch .LBB31_82
.LBB31_80:                              ;   in Loop: Header=BB31_82 Depth=2
	s_or_b64 exec, exec, s[24:25]
	buffer_load_ushort v10, v26, s[0:3], 0 offen
	s_waitcnt vmcnt(0)
	v_fma_mixlo_f16 v23, v2, v10, v23 op_sel_hi:[1,1,1]
	v_fma_mixlo_f16 v22, v27, v10, v22 op_sel_hi:[1,1,1]
	;; [unrolled: 1-line block ×8, first 2 shown]
.LBB31_81:                              ;   in Loop: Header=BB31_82 Depth=2
	s_or_b64 exec, exec, s[34:35]
	s_add_i32 s64, s64, -1
	v_add_u32_e32 v25, 4, v25
	s_cmp_eq_u32 s64, 0
	v_add_u32_e32 v26, 2, v26
	s_cbranch_scc1 .LBB31_103
.LBB31_82:                              ;   Parent Loop BB31_69 Depth=1
                                        ; =>  This Inner Loop Header: Depth=2
	s_and_saveexec_b64 s[34:35], vcc
	s_cbranch_execz .LBB31_81
; %bb.83:                               ;   in Loop: Header=BB31_82 Depth=2
	buffer_load_dword v2, v25, s[0:3], 0 offen
	s_mov_b64 s[38:39], 0
                                        ; implicit-def: $vgpr27
                                        ; implicit-def: $vgpr28
                                        ; implicit-def: $vgpr29
                                        ; implicit-def: $vgpr10_vgpr11
                                        ; implicit-def: $sgpr40
	s_waitcnt vmcnt(0)
	v_mad_u64_u32 v[12:13], s[24:25], v2, s42, v[8:9]
                                        ; implicit-def: $vgpr2
	s_and_saveexec_b64 s[24:25], s[8:9]
	s_xor_b64 s[36:37], exec, s[24:25]
	s_cbranch_execz .LBB31_94
; %bb.84:                               ;   in Loop: Header=BB31_82 Depth=2
	v_ashrrev_i32_e32 v13, 31, v12
	v_lshlrev_b64 v[2:3], 1, v[12:13]
	v_mov_b32_e32 v4, s29
	v_add_co_u32_e64 v12, s[24:25], s28, v2
	v_addc_co_u32_e64 v13, s[24:25], v4, v3, s[24:25]
	global_load_ushort v2, v[12:13], off
	v_mov_b32_e32 v3, 0
	v_mov_b32_e32 v27, 0
	s_and_saveexec_b64 s[24:25], s[10:11]
	s_cbranch_execz .LBB31_86
; %bb.85:                               ;   in Loop: Header=BB31_82 Depth=2
	global_load_ushort v27, v[12:13], off offset:2
.LBB31_86:                              ;   in Loop: Header=BB31_82 Depth=2
	s_or_b64 exec, exec, s[24:25]
	s_and_saveexec_b64 s[24:25], s[12:13]
	s_cbranch_execz .LBB31_88
; %bb.87:                               ;   in Loop: Header=BB31_82 Depth=2
	global_load_ushort v3, v[12:13], off offset:4
.LBB31_88:                              ;   in Loop: Header=BB31_82 Depth=2
	s_or_b64 exec, exec, s[24:25]
	v_mov_b32_e32 v4, 0
	v_mov_b32_e32 v28, 0
	s_and_saveexec_b64 s[24:25], s[14:15]
	s_cbranch_execz .LBB31_90
; %bb.89:                               ;   in Loop: Header=BB31_82 Depth=2
	global_load_ushort v28, v[12:13], off offset:6
.LBB31_90:                              ;   in Loop: Header=BB31_82 Depth=2
	s_or_b64 exec, exec, s[24:25]
	s_and_saveexec_b64 s[24:25], s[16:17]
	s_cbranch_execz .LBB31_92
; %bb.91:                               ;   in Loop: Header=BB31_82 Depth=2
	global_load_ushort v4, v[12:13], off offset:8
.LBB31_92:                              ;   in Loop: Header=BB31_82 Depth=2
	s_or_b64 exec, exec, s[24:25]
	v_mov_b32_e32 v5, 0
	v_mov_b32_e32 v29, 0
	s_and_saveexec_b64 s[24:25], s[18:19]
	s_cbranch_execz .LBB31_96
; %bb.93:                               ;   in Loop: Header=BB31_82 Depth=2
	global_load_ushort v29, v[12:13], off offset:10
	s_or_b64 exec, exec, s[24:25]
	s_and_saveexec_b64 s[24:25], s[20:21]
	s_cbranch_execz .LBB31_98
	s_branch .LBB31_97
.LBB31_94:                              ;   in Loop: Header=BB31_82 Depth=2
	s_andn2_saveexec_b64 s[36:37], s[36:37]
	s_cbranch_execz .LBB31_101
.LBB31_95:                              ;   in Loop: Header=BB31_82 Depth=2
	s_waitcnt vmcnt(0)
	v_ashrrev_i32_e32 v2, 31, v12
	v_lshrrev_b32_e32 v2, 29, v2
	v_add_u32_e32 v2, v12, v2
	v_ashrrev_i32_e32 v2, 3, v2
	v_ashrrev_i32_e32 v3, 31, v2
	v_lshlrev_b64 v[2:3], 4, v[2:3]
	v_mov_b32_e32 v4, s29
	v_add_co_u32_e64 v10, s[24:25], s28, v2
	v_addc_co_u32_e64 v11, s[24:25], v4, v3, s[24:25]
	global_load_dwordx4 v[2:5], v[10:11], off
	v_add_co_u32_e64 v10, s[24:25], 14, v10
	v_addc_co_u32_e64 v11, s[24:25], 0, v11, s[24:25]
	s_or_b64 s[38:39], s[38:39], exec
	s_waitcnt vmcnt(0)
	v_lshrrev_b32_e32 v27, 16, v2
	v_lshrrev_b32_e32 v28, 16, v3
	;; [unrolled: 1-line block ×3, first 2 shown]
	s_or_b64 exec, exec, s[36:37]
	v_mov_b32_e32 v12, s40
	s_and_saveexec_b64 s[24:25], s[38:39]
	s_cbranch_execz .LBB31_80
	s_branch .LBB31_102
.LBB31_96:                              ;   in Loop: Header=BB31_82 Depth=2
	s_or_b64 exec, exec, s[24:25]
	s_and_saveexec_b64 s[24:25], s[20:21]
	s_cbranch_execz .LBB31_98
.LBB31_97:                              ;   in Loop: Header=BB31_82 Depth=2
	global_load_ushort v5, v[12:13], off offset:12
.LBB31_98:                              ;   in Loop: Header=BB31_82 Depth=2
	s_or_b64 exec, exec, s[24:25]
                                        ; implicit-def: $vgpr10_vgpr11
	s_and_saveexec_b64 s[24:25], s[22:23]
	s_xor_b64 s[40:41], exec, s[24:25]
; %bb.99:                               ;   in Loop: Header=BB31_82 Depth=2
	v_add_co_u32_e64 v10, s[24:25], 14, v12
	s_mov_b64 s[38:39], exec
	v_addc_co_u32_e64 v11, s[24:25], 0, v13, s[24:25]
; %bb.100:                              ;   in Loop: Header=BB31_82 Depth=2
	s_or_b64 exec, exec, s[40:41]
	s_mov_b32 s40, 0
	s_and_b64 s[38:39], s[38:39], exec
                                        ; implicit-def: $vgpr12_vgpr13
	s_andn2_saveexec_b64 s[36:37], s[36:37]
	s_cbranch_execnz .LBB31_95
.LBB31_101:                             ;   in Loop: Header=BB31_82 Depth=2
	s_or_b64 exec, exec, s[36:37]
	v_mov_b32_e32 v12, s40
	s_and_saveexec_b64 s[24:25], s[38:39]
	s_cbranch_execz .LBB31_80
.LBB31_102:                             ;   in Loop: Header=BB31_82 Depth=2
	global_load_ushort v12, v[10:11], off
	s_branch .LBB31_80
.LBB31_103:                             ;   in Loop: Header=BB31_69 Depth=1
	v_add_u32_e32 v2, s43, v8
	v_cmp_le_i32_e32 vcc, s42, v24
	s_and_saveexec_b64 s[8:9], vcc
	s_xor_b64 s[8:9], exec, s[8:9]
	s_cbranch_execz .LBB31_121
; %bb.104:                              ;   in Loop: Header=BB31_69 Depth=1
	v_cmp_gt_i32_e32 vcc, s42, v8
	s_and_saveexec_b64 s[10:11], vcc
	s_cbranch_execz .LBB31_106
; %bb.105:                              ;   in Loop: Header=BB31_69 Depth=1
	v_ashrrev_i32_e32 v3, 31, v2
	v_lshlrev_b64 v[4:5], 1, v[2:3]
	v_mov_b32_e32 v3, s31
	v_add_co_u32_e32 v4, vcc, s30, v4
	v_addc_co_u32_e32 v5, vcc, v3, v5, vcc
	global_load_ushort v3, v[4:5], off
	s_waitcnt vmcnt(0)
	v_add_f16_e32 v3, v3, v23
	global_store_short v[4:5], v3, off
.LBB31_106:                             ;   in Loop: Header=BB31_69 Depth=1
	s_or_b64 exec, exec, s[10:11]
	v_or_b32_e32 v3, 1, v8
	v_cmp_gt_i32_e32 vcc, s42, v3
	s_and_saveexec_b64 s[10:11], vcc
	s_cbranch_execz .LBB31_108
; %bb.107:                              ;   in Loop: Header=BB31_69 Depth=1
	v_ashrrev_i32_e32 v3, 31, v2
	v_lshlrev_b64 v[4:5], 1, v[2:3]
	v_mov_b32_e32 v3, s47
	v_add_co_u32_e32 v4, vcc, s46, v4
	v_addc_co_u32_e32 v5, vcc, v3, v5, vcc
	global_load_ushort v3, v[4:5], off
	s_waitcnt vmcnt(0)
	v_add_f16_e32 v3, v3, v22
	global_store_short v[4:5], v3, off
.LBB31_108:                             ;   in Loop: Header=BB31_69 Depth=1
	s_or_b64 exec, exec, s[10:11]
	v_or_b32_e32 v3, 2, v8
	v_cmp_gt_i32_e32 vcc, s42, v3
	s_and_saveexec_b64 s[10:11], vcc
	s_cbranch_execz .LBB31_110
; %bb.109:                              ;   in Loop: Header=BB31_69 Depth=1
	v_ashrrev_i32_e32 v3, 31, v2
	v_lshlrev_b64 v[4:5], 1, v[2:3]
	v_mov_b32_e32 v3, s49
	v_add_co_u32_e32 v4, vcc, s48, v4
	v_addc_co_u32_e32 v5, vcc, v3, v5, vcc
	global_load_ushort v3, v[4:5], off
	s_waitcnt vmcnt(0)
	v_add_f16_e32 v3, v3, v21
	global_store_short v[4:5], v3, off
.LBB31_110:                             ;   in Loop: Header=BB31_69 Depth=1
	s_or_b64 exec, exec, s[10:11]
	v_or_b32_e32 v3, 3, v8
	v_cmp_gt_i32_e32 vcc, s42, v3
	s_and_saveexec_b64 s[10:11], vcc
	s_cbranch_execz .LBB31_112
; %bb.111:                              ;   in Loop: Header=BB31_69 Depth=1
	v_ashrrev_i32_e32 v3, 31, v2
	v_lshlrev_b64 v[4:5], 1, v[2:3]
	v_mov_b32_e32 v3, s51
	v_add_co_u32_e32 v4, vcc, s50, v4
	v_addc_co_u32_e32 v5, vcc, v3, v5, vcc
	global_load_ushort v3, v[4:5], off
	s_waitcnt vmcnt(0)
	v_add_f16_e32 v3, v3, v20
	global_store_short v[4:5], v3, off
.LBB31_112:                             ;   in Loop: Header=BB31_69 Depth=1
	s_or_b64 exec, exec, s[10:11]
	v_or_b32_e32 v3, 4, v8
	v_cmp_gt_i32_e32 vcc, s42, v3
	s_and_saveexec_b64 s[10:11], vcc
	s_cbranch_execz .LBB31_114
; %bb.113:                              ;   in Loop: Header=BB31_69 Depth=1
	v_ashrrev_i32_e32 v3, 31, v2
	v_lshlrev_b64 v[4:5], 1, v[2:3]
	v_mov_b32_e32 v3, s53
	v_add_co_u32_e32 v4, vcc, s52, v4
	v_addc_co_u32_e32 v5, vcc, v3, v5, vcc
	global_load_ushort v3, v[4:5], off
	s_waitcnt vmcnt(0)
	v_add_f16_e32 v3, v3, v19
	global_store_short v[4:5], v3, off
.LBB31_114:                             ;   in Loop: Header=BB31_69 Depth=1
	s_or_b64 exec, exec, s[10:11]
	v_or_b32_e32 v3, 5, v8
	v_cmp_gt_i32_e32 vcc, s42, v3
	s_and_saveexec_b64 s[10:11], vcc
	s_cbranch_execz .LBB31_116
; %bb.115:                              ;   in Loop: Header=BB31_69 Depth=1
	v_ashrrev_i32_e32 v3, 31, v2
	v_lshlrev_b64 v[4:5], 1, v[2:3]
	v_mov_b32_e32 v3, s55
	v_add_co_u32_e32 v4, vcc, s54, v4
	v_addc_co_u32_e32 v5, vcc, v3, v5, vcc
	global_load_ushort v3, v[4:5], off
	s_waitcnt vmcnt(0)
	v_add_f16_e32 v3, v3, v18
	global_store_short v[4:5], v3, off
.LBB31_116:                             ;   in Loop: Header=BB31_69 Depth=1
	s_or_b64 exec, exec, s[10:11]
	v_or_b32_e32 v3, 6, v8
	v_cmp_gt_i32_e32 vcc, s42, v3
	s_and_saveexec_b64 s[10:11], vcc
	s_cbranch_execz .LBB31_118
; %bb.117:                              ;   in Loop: Header=BB31_69 Depth=1
	v_ashrrev_i32_e32 v3, 31, v2
	v_lshlrev_b64 v[4:5], 1, v[2:3]
	v_mov_b32_e32 v3, s57
	v_add_co_u32_e32 v4, vcc, s56, v4
	v_addc_co_u32_e32 v5, vcc, v3, v5, vcc
	global_load_ushort v3, v[4:5], off
	s_waitcnt vmcnt(0)
	v_add_f16_e32 v3, v3, v17
	global_store_short v[4:5], v3, off
.LBB31_118:                             ;   in Loop: Header=BB31_69 Depth=1
	s_or_b64 exec, exec, s[10:11]
	v_or_b32_e32 v3, 7, v8
	v_cmp_gt_i32_e32 vcc, s42, v3
	s_and_saveexec_b64 s[10:11], vcc
	s_cbranch_execz .LBB31_120
; %bb.119:                              ;   in Loop: Header=BB31_69 Depth=1
	v_ashrrev_i32_e32 v3, 31, v2
	v_lshlrev_b64 v[2:3], 1, v[2:3]
	v_mov_b32_e32 v4, s59
	v_add_co_u32_e32 v2, vcc, s58, v2
	v_addc_co_u32_e32 v3, vcc, v4, v3, vcc
	global_load_ushort v4, v[2:3], off
	s_waitcnt vmcnt(0)
	v_add_f16_e32 v4, v4, v16
	global_store_short v[2:3], v4, off
.LBB31_120:                             ;   in Loop: Header=BB31_69 Depth=1
	s_or_b64 exec, exec, s[10:11]
                                        ; implicit-def: $vgpr2
                                        ; implicit-def: $vgpr16
                                        ; implicit-def: $vgpr17
                                        ; implicit-def: $vgpr18
                                        ; implicit-def: $vgpr19
                                        ; implicit-def: $vgpr20
                                        ; implicit-def: $vgpr21
                                        ; implicit-def: $vgpr22
                                        ; implicit-def: $vgpr23
.LBB31_121:                             ;   in Loop: Header=BB31_69 Depth=1
	s_andn2_saveexec_b64 s[8:9], s[8:9]
	s_cbranch_execz .LBB31_68
; %bb.122:                              ;   in Loop: Header=BB31_69 Depth=1
	v_ashrrev_i32_e32 v3, 31, v2
	v_lshrrev_b32_e32 v3, 29, v3
	v_add_u32_e32 v2, v2, v3
	v_ashrrev_i32_e32 v2, 3, v2
	v_ashrrev_i32_e32 v3, 31, v2
	v_lshlrev_b64 v[2:3], 4, v[2:3]
	v_mov_b32_e32 v4, s31
	v_add_co_u32_e32 v10, vcc, s30, v2
	v_addc_co_u32_e32 v11, vcc, v4, v3, vcc
	global_load_dwordx4 v[2:5], v[10:11], off
	s_waitcnt vmcnt(0)
	v_add_f16_e32 v8, v23, v2
	v_add_f16_sdwa v2, v22, v2 dst_sel:DWORD dst_unused:UNUSED_PAD src0_sel:DWORD src1_sel:WORD_1
	v_add_f16_e32 v12, v21, v3
	v_add_f16_sdwa v3, v20, v3 dst_sel:DWORD dst_unused:UNUSED_PAD src0_sel:DWORD src1_sel:WORD_1
	;; [unrolled: 2-line block ×4, first 2 shown]
	v_pack_b32_f16 v5, v17, v5
	v_pack_b32_f16 v4, v13, v4
	;; [unrolled: 1-line block ×4, first 2 shown]
	global_store_dwordx4 v[10:11], v[2:5], off
	s_branch .LBB31_68
.LBB31_123:
	s_endpgm
	.section	.rodata,"a",@progbits
	.p2align	6, 0x0
	.amdhsa_kernel _Z27kspmm_coo_very_sparse_naiveI6__halfLi8ELi16EEvPiS1_S1_S1_S1_PS0_PT_S2_Pfiiii
		.amdhsa_group_segment_fixed_size 4096
		.amdhsa_private_segment_fixed_size 208
		.amdhsa_kernarg_size 344
		.amdhsa_user_sgpr_count 8
		.amdhsa_user_sgpr_private_segment_buffer 1
		.amdhsa_user_sgpr_dispatch_ptr 0
		.amdhsa_user_sgpr_queue_ptr 0
		.amdhsa_user_sgpr_kernarg_segment_ptr 1
		.amdhsa_user_sgpr_dispatch_id 0
		.amdhsa_user_sgpr_flat_scratch_init 1
		.amdhsa_user_sgpr_kernarg_preload_length 0
		.amdhsa_user_sgpr_kernarg_preload_offset 0
		.amdhsa_user_sgpr_private_segment_size 0
		.amdhsa_uses_dynamic_stack 0
		.amdhsa_system_sgpr_private_segment_wavefront_offset 1
		.amdhsa_system_sgpr_workgroup_id_x 1
		.amdhsa_system_sgpr_workgroup_id_y 0
		.amdhsa_system_sgpr_workgroup_id_z 0
		.amdhsa_system_sgpr_workgroup_info 0
		.amdhsa_system_vgpr_workitem_id 0
		.amdhsa_next_free_vgpr 30
		.amdhsa_next_free_sgpr 65
		.amdhsa_accum_offset 32
		.amdhsa_reserve_vcc 1
		.amdhsa_reserve_flat_scratch 0
		.amdhsa_float_round_mode_32 0
		.amdhsa_float_round_mode_16_64 0
		.amdhsa_float_denorm_mode_32 3
		.amdhsa_float_denorm_mode_16_64 3
		.amdhsa_dx10_clamp 1
		.amdhsa_ieee_mode 1
		.amdhsa_fp16_overflow 0
		.amdhsa_tg_split 0
		.amdhsa_exception_fp_ieee_invalid_op 0
		.amdhsa_exception_fp_denorm_src 0
		.amdhsa_exception_fp_ieee_div_zero 0
		.amdhsa_exception_fp_ieee_overflow 0
		.amdhsa_exception_fp_ieee_underflow 0
		.amdhsa_exception_fp_ieee_inexact 0
		.amdhsa_exception_int_div_zero 0
	.end_amdhsa_kernel
	.section	.text._Z27kspmm_coo_very_sparse_naiveI6__halfLi8ELi16EEvPiS1_S1_S1_S1_PS0_PT_S2_Pfiiii,"axG",@progbits,_Z27kspmm_coo_very_sparse_naiveI6__halfLi8ELi16EEvPiS1_S1_S1_S1_PS0_PT_S2_Pfiiii,comdat
.Lfunc_end31:
	.size	_Z27kspmm_coo_very_sparse_naiveI6__halfLi8ELi16EEvPiS1_S1_S1_S1_PS0_PT_S2_Pfiiii, .Lfunc_end31-_Z27kspmm_coo_very_sparse_naiveI6__halfLi8ELi16EEvPiS1_S1_S1_S1_PS0_PT_S2_Pfiiii
                                        ; -- End function
	.section	.AMDGPU.csdata,"",@progbits
; Kernel info:
; codeLenInByte = 4692
; NumSgprs: 69
; NumVgprs: 30
; NumAgprs: 0
; TotalNumVgprs: 30
; ScratchSize: 208
; MemoryBound: 0
; FloatMode: 240
; IeeeMode: 1
; LDSByteSize: 4096 bytes/workgroup (compile time only)
; SGPRBlocks: 8
; VGPRBlocks: 3
; NumSGPRsForWavesPerEU: 69
; NumVGPRsForWavesPerEU: 30
; AccumOffset: 32
; Occupancy: 8
; WaveLimiterHint : 1
; COMPUTE_PGM_RSRC2:SCRATCH_EN: 1
; COMPUTE_PGM_RSRC2:USER_SGPR: 8
; COMPUTE_PGM_RSRC2:TRAP_HANDLER: 0
; COMPUTE_PGM_RSRC2:TGID_X_EN: 1
; COMPUTE_PGM_RSRC2:TGID_Y_EN: 0
; COMPUTE_PGM_RSRC2:TGID_Z_EN: 0
; COMPUTE_PGM_RSRC2:TIDIG_COMP_CNT: 0
; COMPUTE_PGM_RSRC3_GFX90A:ACCUM_OFFSET: 7
; COMPUTE_PGM_RSRC3_GFX90A:TG_SPLIT: 0
	.section	.text._Z27kspmm_coo_very_sparse_naiveI6__halfLi16ELi16EEvPiS1_S1_S1_S1_PS0_PT_S2_Pfiiii,"axG",@progbits,_Z27kspmm_coo_very_sparse_naiveI6__halfLi16ELi16EEvPiS1_S1_S1_S1_PS0_PT_S2_Pfiiii,comdat
